;; amdgpu-corpus repo=ROCm/rocFFT kind=compiled arch=gfx906 opt=O3
	.text
	.amdgcn_target "amdgcn-amd-amdhsa--gfx906"
	.amdhsa_code_object_version 6
	.protected	fft_rtc_fwd_len676_factors_13_13_4_wgs_52_tpt_52_half_ip_CI_unitstride_sbrr_dirReg ; -- Begin function fft_rtc_fwd_len676_factors_13_13_4_wgs_52_tpt_52_half_ip_CI_unitstride_sbrr_dirReg
	.globl	fft_rtc_fwd_len676_factors_13_13_4_wgs_52_tpt_52_half_ip_CI_unitstride_sbrr_dirReg
	.p2align	8
	.type	fft_rtc_fwd_len676_factors_13_13_4_wgs_52_tpt_52_half_ip_CI_unitstride_sbrr_dirReg,@function
fft_rtc_fwd_len676_factors_13_13_4_wgs_52_tpt_52_half_ip_CI_unitstride_sbrr_dirReg: ; @fft_rtc_fwd_len676_factors_13_13_4_wgs_52_tpt_52_half_ip_CI_unitstride_sbrr_dirReg
; %bb.0:
	s_load_dwordx2 s[2:3], s[4:5], 0x50
	s_load_dwordx4 s[8:11], s[4:5], 0x0
	s_load_dwordx2 s[12:13], s[4:5], 0x18
	v_mul_u32_u24_e32 v1, 0x4ed, v0
	v_add_u32_sdwa v5, s6, v1 dst_sel:DWORD dst_unused:UNUSED_PAD src0_sel:DWORD src1_sel:WORD_1
	v_mov_b32_e32 v3, 0
	s_waitcnt lgkmcnt(0)
	v_cmp_lt_u64_e64 s[0:1], s[10:11], 2
	v_mov_b32_e32 v1, 0
	v_mov_b32_e32 v6, v3
	s_and_b64 vcc, exec, s[0:1]
	v_mov_b32_e32 v2, 0
	s_cbranch_vccnz .LBB0_8
; %bb.1:
	s_load_dwordx2 s[0:1], s[4:5], 0x10
	s_add_u32 s6, s12, 8
	s_addc_u32 s7, s13, 0
	v_mov_b32_e32 v1, 0
	v_mov_b32_e32 v2, 0
	s_waitcnt lgkmcnt(0)
	s_add_u32 s14, s0, 8
	s_addc_u32 s15, s1, 0
	s_mov_b64 s[16:17], 1
.LBB0_2:                                ; =>This Inner Loop Header: Depth=1
	s_load_dwordx2 s[18:19], s[14:15], 0x0
                                        ; implicit-def: $vgpr7_vgpr8
	s_waitcnt lgkmcnt(0)
	v_or_b32_e32 v4, s19, v6
	v_cmp_ne_u64_e32 vcc, 0, v[3:4]
	s_and_saveexec_b64 s[0:1], vcc
	s_xor_b64 s[20:21], exec, s[0:1]
	s_cbranch_execz .LBB0_4
; %bb.3:                                ;   in Loop: Header=BB0_2 Depth=1
	v_cvt_f32_u32_e32 v4, s18
	v_cvt_f32_u32_e32 v7, s19
	s_sub_u32 s0, 0, s18
	s_subb_u32 s1, 0, s19
	v_mac_f32_e32 v4, 0x4f800000, v7
	v_rcp_f32_e32 v4, v4
	v_mul_f32_e32 v4, 0x5f7ffffc, v4
	v_mul_f32_e32 v7, 0x2f800000, v4
	v_trunc_f32_e32 v7, v7
	v_mac_f32_e32 v4, 0xcf800000, v7
	v_cvt_u32_f32_e32 v7, v7
	v_cvt_u32_f32_e32 v4, v4
	v_mul_lo_u32 v8, s0, v7
	v_mul_hi_u32 v9, s0, v4
	v_mul_lo_u32 v11, s1, v4
	v_mul_lo_u32 v10, s0, v4
	v_add_u32_e32 v8, v9, v8
	v_add_u32_e32 v8, v8, v11
	v_mul_hi_u32 v9, v4, v10
	v_mul_lo_u32 v11, v4, v8
	v_mul_hi_u32 v13, v4, v8
	v_mul_hi_u32 v12, v7, v10
	v_mul_lo_u32 v10, v7, v10
	v_mul_hi_u32 v14, v7, v8
	v_add_co_u32_e32 v9, vcc, v9, v11
	v_addc_co_u32_e32 v11, vcc, 0, v13, vcc
	v_mul_lo_u32 v8, v7, v8
	v_add_co_u32_e32 v9, vcc, v9, v10
	v_addc_co_u32_e32 v9, vcc, v11, v12, vcc
	v_addc_co_u32_e32 v10, vcc, 0, v14, vcc
	v_add_co_u32_e32 v8, vcc, v9, v8
	v_addc_co_u32_e32 v9, vcc, 0, v10, vcc
	v_add_co_u32_e32 v4, vcc, v4, v8
	v_addc_co_u32_e32 v7, vcc, v7, v9, vcc
	v_mul_lo_u32 v8, s0, v7
	v_mul_hi_u32 v9, s0, v4
	v_mul_lo_u32 v10, s1, v4
	v_mul_lo_u32 v11, s0, v4
	v_add_u32_e32 v8, v9, v8
	v_add_u32_e32 v8, v8, v10
	v_mul_lo_u32 v12, v4, v8
	v_mul_hi_u32 v13, v4, v11
	v_mul_hi_u32 v14, v4, v8
	;; [unrolled: 1-line block ×3, first 2 shown]
	v_mul_lo_u32 v11, v7, v11
	v_mul_hi_u32 v9, v7, v8
	v_add_co_u32_e32 v12, vcc, v13, v12
	v_addc_co_u32_e32 v13, vcc, 0, v14, vcc
	v_mul_lo_u32 v8, v7, v8
	v_add_co_u32_e32 v11, vcc, v12, v11
	v_addc_co_u32_e32 v10, vcc, v13, v10, vcc
	v_addc_co_u32_e32 v9, vcc, 0, v9, vcc
	v_add_co_u32_e32 v8, vcc, v10, v8
	v_addc_co_u32_e32 v9, vcc, 0, v9, vcc
	v_add_co_u32_e32 v4, vcc, v4, v8
	v_addc_co_u32_e32 v9, vcc, v7, v9, vcc
	v_mad_u64_u32 v[7:8], s[0:1], v5, v9, 0
	v_mul_hi_u32 v10, v5, v4
	v_add_co_u32_e32 v11, vcc, v10, v7
	v_addc_co_u32_e32 v12, vcc, 0, v8, vcc
	v_mad_u64_u32 v[7:8], s[0:1], v6, v4, 0
	v_mad_u64_u32 v[9:10], s[0:1], v6, v9, 0
	v_add_co_u32_e32 v4, vcc, v11, v7
	v_addc_co_u32_e32 v4, vcc, v12, v8, vcc
	v_addc_co_u32_e32 v7, vcc, 0, v10, vcc
	v_add_co_u32_e32 v4, vcc, v4, v9
	v_addc_co_u32_e32 v9, vcc, 0, v7, vcc
	v_mul_lo_u32 v10, s19, v4
	v_mul_lo_u32 v11, s18, v9
	v_mad_u64_u32 v[7:8], s[0:1], s18, v4, 0
	v_add3_u32 v8, v8, v11, v10
	v_sub_u32_e32 v10, v6, v8
	v_mov_b32_e32 v11, s19
	v_sub_co_u32_e32 v7, vcc, v5, v7
	v_subb_co_u32_e64 v10, s[0:1], v10, v11, vcc
	v_subrev_co_u32_e64 v11, s[0:1], s18, v7
	v_subbrev_co_u32_e64 v10, s[0:1], 0, v10, s[0:1]
	v_cmp_le_u32_e64 s[0:1], s19, v10
	v_cndmask_b32_e64 v12, 0, -1, s[0:1]
	v_cmp_le_u32_e64 s[0:1], s18, v11
	v_cndmask_b32_e64 v11, 0, -1, s[0:1]
	v_cmp_eq_u32_e64 s[0:1], s19, v10
	v_cndmask_b32_e64 v10, v12, v11, s[0:1]
	v_add_co_u32_e64 v11, s[0:1], 2, v4
	v_addc_co_u32_e64 v12, s[0:1], 0, v9, s[0:1]
	v_add_co_u32_e64 v13, s[0:1], 1, v4
	v_addc_co_u32_e64 v14, s[0:1], 0, v9, s[0:1]
	v_subb_co_u32_e32 v8, vcc, v6, v8, vcc
	v_cmp_ne_u32_e64 s[0:1], 0, v10
	v_cmp_le_u32_e32 vcc, s19, v8
	v_cndmask_b32_e64 v10, v14, v12, s[0:1]
	v_cndmask_b32_e64 v12, 0, -1, vcc
	v_cmp_le_u32_e32 vcc, s18, v7
	v_cndmask_b32_e64 v7, 0, -1, vcc
	v_cmp_eq_u32_e32 vcc, s19, v8
	v_cndmask_b32_e32 v7, v12, v7, vcc
	v_cmp_ne_u32_e32 vcc, 0, v7
	v_cndmask_b32_e64 v7, v13, v11, s[0:1]
	v_cndmask_b32_e32 v8, v9, v10, vcc
	v_cndmask_b32_e32 v7, v4, v7, vcc
.LBB0_4:                                ;   in Loop: Header=BB0_2 Depth=1
	s_andn2_saveexec_b64 s[0:1], s[20:21]
	s_cbranch_execz .LBB0_6
; %bb.5:                                ;   in Loop: Header=BB0_2 Depth=1
	v_cvt_f32_u32_e32 v4, s18
	s_sub_i32 s20, 0, s18
	v_rcp_iflag_f32_e32 v4, v4
	v_mul_f32_e32 v4, 0x4f7ffffe, v4
	v_cvt_u32_f32_e32 v4, v4
	v_mul_lo_u32 v7, s20, v4
	v_mul_hi_u32 v7, v4, v7
	v_add_u32_e32 v4, v4, v7
	v_mul_hi_u32 v4, v5, v4
	v_mul_lo_u32 v7, v4, s18
	v_add_u32_e32 v8, 1, v4
	v_sub_u32_e32 v7, v5, v7
	v_subrev_u32_e32 v9, s18, v7
	v_cmp_le_u32_e32 vcc, s18, v7
	v_cndmask_b32_e32 v7, v7, v9, vcc
	v_cndmask_b32_e32 v4, v4, v8, vcc
	v_add_u32_e32 v8, 1, v4
	v_cmp_le_u32_e32 vcc, s18, v7
	v_cndmask_b32_e32 v7, v4, v8, vcc
	v_mov_b32_e32 v8, v3
.LBB0_6:                                ;   in Loop: Header=BB0_2 Depth=1
	s_or_b64 exec, exec, s[0:1]
	v_mul_lo_u32 v4, v8, s18
	v_mul_lo_u32 v11, v7, s19
	v_mad_u64_u32 v[9:10], s[0:1], v7, s18, 0
	s_load_dwordx2 s[0:1], s[6:7], 0x0
	s_add_u32 s16, s16, 1
	v_add3_u32 v4, v10, v11, v4
	v_sub_co_u32_e32 v5, vcc, v5, v9
	v_subb_co_u32_e32 v4, vcc, v6, v4, vcc
	s_waitcnt lgkmcnt(0)
	v_mul_lo_u32 v4, s0, v4
	v_mul_lo_u32 v6, s1, v5
	v_mad_u64_u32 v[1:2], s[0:1], s0, v5, v[1:2]
	s_addc_u32 s17, s17, 0
	s_add_u32 s6, s6, 8
	v_add3_u32 v2, v6, v2, v4
	v_mov_b32_e32 v4, s10
	v_mov_b32_e32 v5, s11
	s_addc_u32 s7, s7, 0
	v_cmp_ge_u64_e32 vcc, s[16:17], v[4:5]
	s_add_u32 s14, s14, 8
	s_addc_u32 s15, s15, 0
	s_cbranch_vccnz .LBB0_9
; %bb.7:                                ;   in Loop: Header=BB0_2 Depth=1
	v_mov_b32_e32 v5, v7
	v_mov_b32_e32 v6, v8
	s_branch .LBB0_2
.LBB0_8:
	v_mov_b32_e32 v8, v6
	v_mov_b32_e32 v7, v5
.LBB0_9:
	s_lshl_b64 s[0:1], s[10:11], 3
	s_add_u32 s0, s12, s0
	s_addc_u32 s1, s13, s1
	s_load_dwordx2 s[6:7], s[0:1], 0x0
	s_load_dwordx2 s[10:11], s[4:5], 0x20
	v_mov_b32_e32 v24, 0
                                        ; implicit-def: $vgpr26
                                        ; implicit-def: $vgpr25
                                        ; implicit-def: $vgpr21
                                        ; implicit-def: $vgpr20
                                        ; implicit-def: $vgpr17
                                        ; implicit-def: $vgpr16
                                        ; implicit-def: $vgpr14
                                        ; implicit-def: $vgpr12
                                        ; implicit-def: $vgpr10
                                        ; implicit-def: $vgpr6
                                        ; implicit-def: $vgpr11
                                        ; implicit-def: $vgpr9
                                        ; implicit-def: $vgpr15
                                        ; implicit-def: $vgpr13
                                        ; implicit-def: $vgpr19
                                        ; implicit-def: $vgpr18
                                        ; implicit-def: $vgpr23
                                        ; implicit-def: $vgpr22
                                        ; implicit-def: $vgpr28
                                        ; implicit-def: $vgpr27
	s_waitcnt lgkmcnt(0)
	v_mad_u64_u32 v[1:2], s[0:1], s6, v7, v[1:2]
	s_mov_b32 s0, 0x4ec4ec5
	v_mul_lo_u32 v3, s6, v8
	v_mul_lo_u32 v4, s7, v7
	v_mul_hi_u32 v5, v0, s0
	v_cmp_gt_u64_e32 vcc, s[10:11], v[7:8]
                                        ; implicit-def: $vgpr8
	v_add3_u32 v2, v4, v2, v3
	v_mul_u32_u24_e32 v3, 52, v5
	v_sub_u32_e32 v0, v0, v3
	v_lshlrev_b64 v[2:3], 2, v[1:2]
                                        ; implicit-def: $vgpr5
                                        ; implicit-def: $vgpr1
                                        ; implicit-def: $vgpr4
	s_and_saveexec_b64 s[4:5], vcc
	s_cbranch_execz .LBB0_11
; %bb.10:
	v_mov_b32_e32 v1, 0
	v_mov_b32_e32 v4, s3
	v_add_co_u32_e64 v6, s[0:1], s2, v2
	v_addc_co_u32_e64 v7, s[0:1], v4, v3, s[0:1]
	v_lshlrev_b64 v[4:5], 2, v[0:1]
	v_add_co_u32_e64 v6, s[0:1], v6, v4
	v_addc_co_u32_e64 v7, s[0:1], v7, v5, s[0:1]
	global_load_dword v25, v[6:7], off offset:208
	global_load_dword v20, v[6:7], off offset:416
	;; [unrolled: 1-line block ×12, first 2 shown]
	global_load_dword v24, v[6:7], off
	s_waitcnt vmcnt(12)
	v_lshrrev_b32_e32 v26, 16, v25
	s_waitcnt vmcnt(11)
	v_lshrrev_b32_e32 v21, 16, v20
	;; [unrolled: 2-line block ×12, first 2 shown]
.LBB0_11:
	s_or_b64 exec, exec, s[4:5]
	s_waitcnt vmcnt(0)
	v_add_f16_e32 v7, v25, v24
	v_add_f16_sdwa v29, v26, v24 dst_sel:DWORD dst_unused:UNUSED_PAD src0_sel:DWORD src1_sel:WORD_1
	v_add_f16_e32 v7, v20, v7
	v_add_f16_e32 v29, v21, v29
	;; [unrolled: 1-line block ×21, first 2 shown]
	v_add_f16_sdwa v29, v28, v29 dst_sel:WORD_1 dst_unused:UNUSED_PAD src0_sel:DWORD src1_sel:DWORD
	v_or_b32_e32 v7, v29, v7
	v_add_f16_e32 v29, v25, v27
	v_add_f16_e32 v30, v26, v28
	v_sub_f16_e32 v25, v25, v27
	v_sub_f16_e32 v26, v26, v28
	v_mul_f16_e32 v27, 0x3b15, v29
	s_movk_i32 s11, 0x3770
	s_mov_b32 s14, 0xb770
	v_mul_f16_e32 v31, 0x388b, v29
	s_movk_i32 s12, 0x3a95
	s_mov_b32 s15, 0xba95
	;; [unrolled: 3-line block ×6, first 2 shown]
	v_fma_f16 v28, v26, s11, v27
	v_fma_f16 v27, v26, s14, v27
	;; [unrolled: 1-line block ×12, first 2 shown]
	s_movk_i32 s6, 0x3b15
	v_mul_f16_e32 v29, 0xb770, v25
	s_movk_i32 s5, 0x388b
	v_mul_f16_e32 v41, 0xba95, v25
	;; [unrolled: 2-line block ×3, first 2 shown]
	s_mov_b32 s1, 0xb5ac
	v_mul_f16_e32 v45, 0xbb7b, v25
	s_mov_b32 s7, 0xb9fd
	v_mul_f16_e32 v47, 0xb94e, v25
	;; [unrolled: 2-line block ×3, first 2 shown]
	v_fma_f16 v40, v30, s6, v29
	v_fma_f16 v29, v30, s6, -v29
	v_fma_f16 v42, v30, s5, v41
	v_fma_f16 v41, v30, s5, -v41
	;; [unrolled: 2-line block ×6, first 2 shown]
	v_add_f16_e32 v28, v28, v24
	v_add_f16_sdwa v30, v40, v24 dst_sel:DWORD dst_unused:UNUSED_PAD src0_sel:DWORD src1_sel:WORD_1
	v_add_f16_e32 v27, v27, v24
	v_add_f16_sdwa v29, v29, v24 dst_sel:DWORD dst_unused:UNUSED_PAD src0_sel:DWORD src1_sel:WORD_1
	;; [unrolled: 2-line block ×12, first 2 shown]
	v_add_f16_e32 v25, v20, v22
	v_sub_f16_e32 v20, v20, v22
	v_add_f16_e32 v22, v21, v23
	v_sub_f16_e32 v21, v21, v23
	v_mul_f16_e32 v23, 0x388b, v25
	v_fma_f16 v49, v21, s12, v23
	v_add_f16_e32 v28, v49, v28
	v_mul_f16_e32 v49, 0xba95, v20
	v_fma_f16 v23, v21, s15, v23
	v_add_f16_e32 v23, v23, v27
	v_fma_f16 v27, v22, s5, -v49
	v_add_f16_e32 v27, v27, v29
	v_mul_f16_e32 v29, 0xb5ac, v25
	v_fma_f16 v50, v22, s5, v49
	v_fma_f16 v49, v21, s17, v29
	v_add_f16_e32 v32, v49, v32
	v_mul_f16_e32 v49, 0xbb7b, v20
	v_fma_f16 v29, v21, s16, v29
	v_add_f16_e32 v29, v29, v31
	v_fma_f16 v31, v22, s1, -v49
	v_add_f16_e32 v31, v31, v41
	v_mul_f16_e32 v41, 0xbbc4, v25
	v_add_f16_e32 v30, v50, v30
	v_fma_f16 v50, v22, s1, v49
	v_fma_f16 v49, v21, s21, v41
	v_add_f16_e32 v34, v49, v34
	v_mul_f16_e32 v49, 0xb3a8, v20
	v_fma_f16 v41, v21, s20, v41
	v_add_f16_e32 v33, v41, v33
	v_fma_f16 v41, v22, s4, -v49
	v_add_f16_e32 v41, v41, v43
	v_mul_f16_e32 v43, 0xb9fd, v25
	v_add_f16_e32 v40, v50, v40
	;; [unrolled: 10-line block ×3, first 2 shown]
	v_fma_f16 v50, v22, s7, v49
	v_fma_f16 v49, v21, s13, v45
	v_add_f16_e32 v38, v49, v38
	v_mul_f16_e32 v49, 0x3bf1, v20
	v_fma_f16 v45, v21, s10, v45
	v_add_f16_e32 v37, v45, v37
	v_fma_f16 v45, v22, s0, -v49
	v_mul_f16_e32 v25, 0x3b15, v25
	v_add_f16_e32 v45, v45, v47
	v_fma_f16 v47, v21, s14, v25
	v_mul_f16_e32 v20, 0x3770, v20
	v_add_f16_e32 v44, v50, v44
	v_fma_f16 v50, v22, s0, v49
	v_add_f16_e32 v39, v47, v39
	v_fma_f16 v47, v22, s6, v20
	v_fma_f16 v20, v22, s6, -v20
	v_add_f16_e32 v22, v16, v18
	v_sub_f16_e32 v16, v16, v18
	v_add_f16_e32 v18, v17, v19
	v_sub_f16_e32 v17, v17, v19
	v_mul_f16_e32 v19, 0x2fb7, v22
	v_fma_f16 v21, v21, s11, v25
	v_add_f16_e32 v20, v20, v24
	v_fma_f16 v24, v17, s10, v19
	v_mul_f16_e32 v25, 0xbbf1, v16
	v_fma_f16 v19, v17, s13, v19
	v_add_f16_e32 v21, v21, v26
	v_fma_f16 v26, v18, s0, v25
	v_add_f16_e32 v19, v19, v23
	v_fma_f16 v23, v18, s0, -v25
	v_mul_f16_e32 v25, 0xbbc4, v22
	v_add_f16_e32 v24, v24, v28
	v_add_f16_e32 v23, v23, v27
	v_fma_f16 v27, v17, s21, v25
	v_mul_f16_e32 v28, 0xb3a8, v16
	v_fma_f16 v25, v17, s20, v25
	v_add_f16_e32 v26, v26, v30
	v_fma_f16 v30, v18, s4, v28
	v_add_f16_e32 v25, v25, v29
	v_fma_f16 v28, v18, s4, -v28
	v_mul_f16_e32 v29, 0xb5ac, v22
	v_add_f16_e32 v28, v28, v31
	v_fma_f16 v31, v17, s16, v29
	v_fma_f16 v29, v17, s17, v29
	v_add_f16_e32 v29, v29, v33
	v_mul_f16_e32 v33, 0x3b15, v22
	v_add_f16_e32 v27, v27, v32
	v_add_f16_e32 v30, v30, v40
	v_mul_f16_e32 v32, 0x3b7b, v16
	v_fma_f16 v40, v17, s14, v33
	v_add_f16_e32 v31, v31, v34
	v_fma_f16 v34, v18, s1, v32
	v_fma_f16 v32, v18, s1, -v32
	v_add_f16_e32 v36, v40, v36
	v_mul_f16_e32 v40, 0x3770, v16
	v_fma_f16 v33, v17, s11, v33
	v_add_f16_e32 v32, v32, v41
	v_fma_f16 v41, v18, s6, v40
	v_add_f16_e32 v33, v33, v35
	v_fma_f16 v35, v18, s6, -v40
	v_mul_f16_e32 v40, 0x388b, v22
	v_add_f16_e32 v34, v34, v42
	v_fma_f16 v42, v17, s12, v40
	v_add_f16_e32 v38, v42, v38
	v_mul_f16_e32 v42, 0xba95, v16
	v_fma_f16 v40, v17, s15, v40
	v_mul_f16_e32 v22, 0xb9fd, v22
	v_add_f16_e32 v35, v35, v43
	v_fma_f16 v43, v18, s5, v42
	v_add_f16_e32 v37, v40, v37
	v_fma_f16 v40, v18, s5, -v42
	v_fma_f16 v42, v17, s19, v22
	v_mul_f16_e32 v16, 0xb94e, v16
	v_add_f16_e32 v39, v42, v39
	v_fma_f16 v42, v18, s7, v16
	v_fma_f16 v16, v18, s7, -v16
	v_add_f16_e32 v18, v12, v13
	v_fma_f16 v17, v17, s18, v22
	v_sub_f16_e32 v12, v12, v13
	v_add_f16_e32 v13, v14, v15
	v_sub_f16_e32 v14, v14, v15
	v_mul_f16_e32 v15, 0xb5ac, v18
	v_add_f16_e32 v17, v17, v21
	v_add_f16_e32 v16, v16, v20
	v_fma_f16 v20, v14, s17, v15
	v_mul_f16_e32 v21, 0xbb7b, v12
	v_fma_f16 v15, v14, s16, v15
	v_fma_f16 v22, v13, s1, v21
	v_add_f16_e32 v15, v15, v19
	v_fma_f16 v19, v13, s1, -v21
	v_mul_f16_e32 v21, 0xb9fd, v18
	v_add_f16_e32 v20, v20, v24
	v_add_f16_e32 v19, v19, v23
	v_fma_f16 v23, v14, s18, v21
	v_mul_f16_e32 v24, 0x394e, v12
	v_fma_f16 v21, v14, s19, v21
	v_add_f16_e32 v22, v22, v26
	v_fma_f16 v26, v13, s7, v24
	v_add_f16_e32 v21, v21, v25
	v_fma_f16 v24, v13, s7, -v24
	v_mul_f16_e32 v25, 0x3b15, v18
	v_add_f16_e32 v23, v23, v27
	v_add_f16_e32 v24, v24, v28
	v_fma_f16 v27, v14, s14, v25
	v_mul_f16_e32 v28, 0x3770, v12
	v_fma_f16 v25, v14, s11, v25
	v_add_f16_e32 v26, v26, v30
	;; [unrolled: 10-line block ×3, first 2 shown]
	v_fma_f16 v34, v13, s0, v32
	v_add_f16_e32 v29, v29, v33
	v_fma_f16 v32, v13, s0, -v32
	v_mul_f16_e32 v33, 0xbbc4, v18
	v_add_f16_e32 v32, v32, v35
	v_fma_f16 v35, v14, s20, v33
	v_fma_f16 v33, v14, s21, v33
	v_mul_f16_e32 v18, 0x388b, v18
	v_add_f16_e32 v31, v31, v36
	v_mul_f16_e32 v36, 0x33a8, v12
	v_add_f16_e32 v33, v33, v37
	v_fma_f16 v37, v14, s15, v18
	v_mul_f16_e32 v12, 0x3a95, v12
	v_add_f16_e32 v35, v35, v38
	v_fma_f16 v38, v13, s4, v36
	v_fma_f16 v36, v13, s4, -v36
	v_add_f16_e32 v37, v37, v39
	v_fma_f16 v39, v13, s5, v12
	v_fma_f16 v12, v13, s5, -v12
	v_add_f16_e32 v13, v8, v9
	v_fma_f16 v14, v14, s12, v18
	v_add_f16_e32 v12, v12, v16
	v_add_f16_e32 v16, v10, v11
	v_sub_f16_e32 v8, v8, v9
	v_sub_f16_e32 v9, v10, v11
	v_mul_f16_e32 v10, 0xb9fd, v13
	v_add_f16_e32 v14, v14, v17
	v_fma_f16 v11, v9, s19, v10
	v_mul_f16_e32 v17, 0xb94e, v8
	v_fma_f16 v10, v9, s18, v10
	v_fma_f16 v18, v16, s7, v17
	v_add_f16_e32 v10, v10, v15
	v_fma_f16 v15, v16, s7, -v17
	v_mul_f16_e32 v17, 0x2fb7, v13
	v_add_f16_e32 v11, v11, v20
	v_add_f16_e32 v15, v15, v19
	v_fma_f16 v19, v9, s13, v17
	v_mul_f16_e32 v20, 0x3bf1, v8
	v_fma_f16 v17, v9, s10, v17
	v_add_f16_e32 v18, v18, v22
	v_fma_f16 v22, v16, s0, v20
	v_add_f16_e32 v17, v17, v21
	v_fma_f16 v20, v16, s0, -v20
	v_mul_f16_e32 v21, 0x388b, v13
	v_add_f16_e32 v19, v19, v23
	v_add_f16_e32 v20, v20, v24
	v_fma_f16 v23, v9, s12, v21
	v_mul_f16_e32 v24, 0xba95, v8
	v_fma_f16 v21, v9, s15, v21
	v_add_f16_e32 v22, v22, v26
	;; [unrolled: 10-line block ×3, first 2 shown]
	v_fma_f16 v30, v16, s4, v28
	v_add_f16_e32 v25, v25, v29
	v_fma_f16 v28, v16, s4, -v28
	v_mul_f16_e32 v29, 0x3b15, v13
	v_add_f16_e32 v27, v27, v31
	v_add_f16_e32 v28, v28, v32
	v_fma_f16 v31, v9, s14, v29
	v_mul_f16_e32 v32, 0x3770, v8
	v_mul_f16_e32 v8, 0xbb7b, v8
	v_add_f16_e32 v31, v31, v35
	v_fma_f16 v35, v16, s1, v8
	v_fma_f16 v8, v16, s1, -v8
	v_fma_f16 v29, v9, s11, v29
	v_mul_f16_e32 v13, 0xb5ac, v13
	v_add_f16_e32 v8, v8, v12
	v_add_f16_e32 v12, v1, v4
	v_add_f16_e32 v29, v29, v33
	v_fma_f16 v33, v9, s17, v13
	v_fma_f16 v9, v9, s16, v13
	v_add_f16_e32 v13, v5, v6
	v_sub_f16_e32 v1, v1, v4
	v_sub_f16_e32 v4, v5, v6
	v_mul_f16_e32 v5, 0xbbc4, v12
	v_fma_f16 v6, v4, s21, v5
	v_add_f16_e32 v41, v41, v44
	v_add_f16_e32 v6, v6, v11
	v_mul_f16_e32 v11, 0xb3a8, v1
	v_fma_f16 v5, v4, s20, v5
	v_add_f16_e32 v34, v34, v41
	v_add_f16_e32 v9, v9, v14
	v_fma_f16 v14, v13, s4, v11
	v_add_f16_e32 v5, v5, v10
	v_fma_f16 v10, v13, s4, -v11
	v_mul_f16_e32 v11, 0x3b15, v12
	v_add_f16_e32 v30, v30, v34
	v_fma_f16 v34, v16, s6, v32
	v_fma_f16 v32, v16, s6, -v32
	v_add_f16_e32 v10, v10, v15
	v_fma_f16 v15, v4, s14, v11
	v_mul_f16_e32 v16, 0x3770, v1
	v_fma_f16 v11, v4, s11, v11
	v_add_f16_e32 v14, v14, v18
	v_fma_f16 v18, v13, s6, v16
	v_add_f16_e32 v11, v11, v17
	v_fma_f16 v16, v13, s6, -v16
	v_mul_f16_e32 v17, 0xb9fd, v12
	v_add_f16_e32 v15, v15, v19
	v_add_f16_e32 v16, v16, v20
	v_fma_f16 v19, v4, s19, v17
	v_mul_f16_e32 v20, 0xb94e, v1
	v_fma_f16 v17, v4, s18, v17
	v_add_f16_e32 v18, v18, v22
	v_fma_f16 v22, v13, s7, v20
	v_add_f16_e32 v17, v17, v21
	v_fma_f16 v20, v13, s7, -v20
	v_mul_f16_e32 v21, 0x388b, v12
	v_add_f16_e32 v19, v19, v23
	v_add_f16_e32 v20, v20, v24
	v_fma_f16 v23, v4, s15, v21
	v_mul_f16_e32 v24, 0x3a95, v1
	v_fma_f16 v21, v4, s12, v21
	v_add_f16_e32 v22, v22, v26
	v_fma_f16 v26, v13, s5, v24
	v_add_f16_e32 v21, v21, v25
	v_fma_f16 v24, v13, s5, -v24
	v_mul_f16_e32 v25, 0xb5ac, v12
	v_add_f16_e32 v46, v50, v46
	v_add_f16_e32 v47, v47, v48
	v_add_f16_e32 v23, v23, v27
	;; [unrolled: 1-line block ×3, first 2 shown]
	v_fma_f16 v27, v4, s17, v25
	v_mul_f16_e32 v28, 0xbb7b, v1
	v_mul_f16_e32 v1, 0x3bf1, v1
	v_add_f16_e32 v43, v43, v46
	v_add_f16_e32 v42, v42, v47
	;; [unrolled: 1-line block ×3, first 2 shown]
	v_fma_f16 v31, v13, s0, v1
	v_fma_f16 v1, v13, s0, -v1
	v_add_f16_e32 v40, v40, v45
	v_add_f16_e32 v38, v38, v43
	;; [unrolled: 1-line block ×3, first 2 shown]
	v_fma_f16 v25, v4, s16, v25
	v_mul_f16_e32 v12, 0x2fb7, v12
	v_add_f16_e32 v8, v1, v8
	v_mad_u32_u24 v1, v0, 52, 0
	v_add_f16_e32 v36, v36, v40
	v_add_f16_e32 v34, v34, v38
	;; [unrolled: 1-line block ×5, first 2 shown]
	v_fma_f16 v30, v13, s1, v28
	v_add_f16_e32 v25, v25, v29
	v_fma_f16 v29, v4, s13, v12
	ds_write_b32 v1, v7
	v_pack_b32_f16 v7, v15, v18
	v_pack_b32_f16 v6, v6, v14
	v_add_f16_e32 v32, v32, v36
	v_add_f16_e32 v30, v30, v34
	v_fma_f16 v28, v13, s1, -v28
	v_add_f16_e32 v29, v29, v33
	v_add_f16_e32 v31, v31, v35
	v_fma_f16 v4, v4, s10, v12
	ds_write2_b32 v1, v6, v7 offset0:1 offset1:2
	v_pack_b32_f16 v6, v23, v26
	v_pack_b32_f16 v7, v19, v22
	v_add_f16_e32 v28, v28, v32
	v_add_f16_e32 v4, v4, v9
	ds_write2_b32 v1, v7, v6 offset0:3 offset1:4
	v_pack_b32_f16 v6, v29, v31
	v_pack_b32_f16 v7, v27, v30
	ds_write2_b32 v1, v7, v6 offset0:5 offset1:6
	v_pack_b32_f16 v6, v25, v28
	v_pack_b32_f16 v4, v4, v8
	;; [unrolled: 3-line block ×4, first 2 shown]
	s_movk_i32 s10, 0x4f
	ds_write2_b32 v1, v5, v4 offset0:11 offset1:12
	v_mul_lo_u16_sdwa v4, v0, s10 dst_sel:DWORD dst_unused:UNUSED_PAD src0_sel:BYTE_0 src1_sel:DWORD
	v_lshrrev_b16_e32 v9, 10, v4
	v_mul_lo_u16_e32 v4, 13, v9
	v_sub_u16_e32 v8, v0, v4
	v_mov_b32_e32 v4, 12
	v_mul_u32_u24_sdwa v4, v8, v4 dst_sel:DWORD dst_unused:UNUSED_PAD src0_sel:BYTE_0 src1_sel:DWORD
	v_lshlrev_b32_e32 v4, 2, v4
	s_waitcnt lgkmcnt(0)
	; wave barrier
	s_waitcnt lgkmcnt(0)
	global_load_dwordx4 v[11:14], v4, s[8:9] offset:32
	global_load_dwordx4 v[26:29], v4, s[8:9] offset:16
	global_load_dwordx4 v[30:33], v4, s[8:9]
	s_movk_i32 s10, 0xffd0
	v_mad_i32_i24 v10, v0, s10, v1
	v_add_u32_e32 v5, 0x800, v10
	ds_read2_b32 v[20:21], v5 offset0:8 offset1:60
	v_add_u32_e32 v6, 0x400, v10
	v_add_u32_e32 v7, 0x200, v10
	ds_read2_b32 v[18:19], v10 offset0:104 offset1:156
	ds_read2_b32 v[15:16], v6 offset0:160 offset1:212
	;; [unrolled: 1-line block ×4, first 2 shown]
	ds_read_b32 v37, v10 offset:2496
	s_waitcnt lgkmcnt(5)
	v_lshrrev_b32_e32 v17, 16, v20
	v_lshrrev_b32_e32 v36, 16, v21
	s_waitcnt lgkmcnt(3)
	v_lshrrev_b32_e32 v4, 16, v16
	v_mul_u32_u24_e32 v9, 0x2a4, v9
	s_waitcnt vmcnt(2)
	v_mul_f16_sdwa v24, v17, v12 dst_sel:DWORD dst_unused:UNUSED_PAD src0_sel:DWORD src1_sel:WORD_1
	v_fma_f16 v25, v20, v12, -v24
	v_mul_f16_sdwa v20, v20, v12 dst_sel:DWORD dst_unused:UNUSED_PAD src0_sel:DWORD src1_sel:WORD_1
	v_fma_f16 v24, v17, v12, v20
	v_mul_f16_sdwa v12, v36, v13 dst_sel:DWORD dst_unused:UNUSED_PAD src0_sel:DWORD src1_sel:WORD_1
	v_fma_f16 v38, v21, v13, -v12
	v_mul_f16_sdwa v12, v21, v13 dst_sel:DWORD dst_unused:UNUSED_PAD src0_sel:DWORD src1_sel:WORD_1
	s_waitcnt lgkmcnt(0)
	v_lshrrev_b32_e32 v17, 16, v37
	v_fma_f16 v36, v36, v13, v12
	v_mul_f16_sdwa v12, v17, v14 dst_sel:DWORD dst_unused:UNUSED_PAD src0_sel:DWORD src1_sel:WORD_1
	v_fma_f16 v39, v37, v14, -v12
	v_mul_f16_sdwa v12, v37, v14 dst_sel:DWORD dst_unused:UNUSED_PAD src0_sel:DWORD src1_sel:WORD_1
	v_fma_f16 v37, v17, v14, v12
	v_mul_f16_sdwa v12, v16, v11 dst_sel:DWORD dst_unused:UNUSED_PAD src0_sel:DWORD src1_sel:WORD_1
	v_fma_f16 v20, v4, v11, v12
	v_mul_f16_sdwa v4, v4, v11 dst_sel:DWORD dst_unused:UNUSED_PAD src0_sel:DWORD src1_sel:WORD_1
	v_fma_f16 v21, v16, v11, -v4
	v_lshrrev_b32_e32 v4, 16, v34
	v_lshrrev_b32_e32 v13, 16, v35
	s_waitcnt vmcnt(1)
	v_mul_f16_sdwa v12, v34, v27 dst_sel:DWORD dst_unused:UNUSED_PAD src0_sel:DWORD src1_sel:WORD_1
	v_mul_f16_sdwa v14, v35, v28 dst_sel:DWORD dst_unused:UNUSED_PAD src0_sel:DWORD src1_sel:WORD_1
	v_lshrrev_b32_e32 v16, 16, v15
	v_mul_f16_sdwa v11, v4, v27 dst_sel:DWORD dst_unused:UNUSED_PAD src0_sel:DWORD src1_sel:WORD_1
	v_fma_f16 v4, v4, v27, v12
	v_mul_f16_sdwa v12, v13, v28 dst_sel:DWORD dst_unused:UNUSED_PAD src0_sel:DWORD src1_sel:WORD_1
	v_fma_f16 v13, v13, v28, v14
	v_mul_f16_sdwa v14, v16, v29 dst_sel:DWORD dst_unused:UNUSED_PAD src0_sel:DWORD src1_sel:WORD_1
	v_fma_f16 v14, v15, v29, -v14
	v_mul_f16_sdwa v15, v15, v29 dst_sel:DWORD dst_unused:UNUSED_PAD src0_sel:DWORD src1_sel:WORD_1
	v_lshrrev_b32_e32 v17, 16, v23
	v_fma_f16 v15, v16, v29, v15
	v_mul_f16_sdwa v16, v23, v26 dst_sel:DWORD dst_unused:UNUSED_PAD src0_sel:DWORD src1_sel:WORD_1
	v_fma_f16 v16, v17, v26, v16
	v_mul_f16_sdwa v17, v17, v26 dst_sel:DWORD dst_unused:UNUSED_PAD src0_sel:DWORD src1_sel:WORD_1
	v_fma_f16 v17, v23, v26, -v17
	v_lshrrev_b32_e32 v23, 16, v18
	s_waitcnt vmcnt(0)
	v_mul_f16_sdwa v26, v31, v23 dst_sel:DWORD dst_unused:UNUSED_PAD src0_sel:WORD_1 src1_sel:DWORD
	v_fma_f16 v26, v31, v18, -v26
	v_mul_f16_sdwa v18, v31, v18 dst_sel:DWORD dst_unused:UNUSED_PAD src0_sel:WORD_1 src1_sel:DWORD
	v_fma_f16 v11, v34, v27, -v11
	v_fma_f16 v27, v31, v23, v18
	v_lshrrev_b32_e32 v18, 16, v19
	v_mul_f16_sdwa v23, v32, v18 dst_sel:DWORD dst_unused:UNUSED_PAD src0_sel:WORD_1 src1_sel:DWORD
	v_fma_f16 v12, v35, v28, -v12
	v_fma_f16 v28, v32, v19, -v23
	v_mul_f16_sdwa v19, v32, v19 dst_sel:DWORD dst_unused:UNUSED_PAD src0_sel:WORD_1 src1_sel:DWORD
	v_fma_f16 v29, v32, v18, v19
	ds_read2_b32 v[18:19], v10 offset1:52
	v_lshrrev_b32_e32 v31, 16, v22
	v_mul_f16_sdwa v23, v33, v31 dst_sel:DWORD dst_unused:UNUSED_PAD src0_sel:WORD_1 src1_sel:DWORD
	v_fma_f16 v23, v33, v22, -v23
	v_mul_f16_sdwa v22, v33, v22 dst_sel:DWORD dst_unused:UNUSED_PAD src0_sel:WORD_1 src1_sel:DWORD
	v_fma_f16 v22, v33, v31, v22
	s_waitcnt lgkmcnt(0)
	v_lshrrev_b32_e32 v31, 16, v19
	v_mul_f16_sdwa v32, v30, v19 dst_sel:DWORD dst_unused:UNUSED_PAD src0_sel:WORD_1 src1_sel:DWORD
	v_fma_f16 v32, v30, v31, v32
	v_mul_f16_sdwa v31, v30, v31 dst_sel:DWORD dst_unused:UNUSED_PAD src0_sel:WORD_1 src1_sel:DWORD
	v_fma_f16 v19, v30, v19, -v31
	v_sub_f16_e32 v31, v32, v37
	v_add_f16_e32 v30, v19, v39
	v_mul_f16_e32 v33, 0xb770, v31
	v_mul_f16_e32 v35, 0xba95, v31
	;; [unrolled: 1-line block ×6, first 2 shown]
	v_sub_f16_e32 v48, v19, v39
	v_fma_f16 v34, v30, s6, -v33
	v_fma_f16 v33, v30, s6, v33
	v_fma_f16 v40, v30, s5, -v35
	v_fma_f16 v35, v30, s5, v35
	;; [unrolled: 2-line block ×6, first 2 shown]
	v_add_f16_e32 v31, v32, v37
	v_mul_f16_e32 v49, 0xb770, v48
	v_mul_f16_e32 v51, 0xba95, v48
	v_mul_f16_e32 v53, 0xbbf1, v48
	v_mul_f16_e32 v55, 0xbb7b, v48
	v_mul_f16_e32 v57, 0xb94e, v48
	v_mul_f16_e32 v48, 0xb3a8, v48
	v_fma_f16 v50, v31, s6, v49
	v_fma_f16 v49, v31, s6, -v49
	v_fma_f16 v52, v31, s5, v51
	v_fma_f16 v51, v31, s5, -v51
	;; [unrolled: 2-line block ×6, first 2 shown]
	v_add_f16_e32 v19, v19, v18
	v_add_f16_sdwa v32, v32, v18 dst_sel:DWORD dst_unused:UNUSED_PAD src0_sel:DWORD src1_sel:WORD_1
	v_add_f16_e32 v34, v34, v18
	v_add_f16_sdwa v48, v50, v18 dst_sel:DWORD dst_unused:UNUSED_PAD src0_sel:DWORD src1_sel:WORD_1
	v_add_f16_e32 v33, v33, v18
	v_add_f16_sdwa v49, v49, v18 dst_sel:DWORD dst_unused:UNUSED_PAD src0_sel:DWORD src1_sel:WORD_1
	v_add_f16_e32 v40, v40, v18
	v_add_f16_sdwa v50, v52, v18 dst_sel:DWORD dst_unused:UNUSED_PAD src0_sel:DWORD src1_sel:WORD_1
	v_add_f16_e32 v35, v35, v18
	v_add_f16_sdwa v51, v51, v18 dst_sel:DWORD dst_unused:UNUSED_PAD src0_sel:DWORD src1_sel:WORD_1
	v_add_f16_e32 v42, v42, v18
	v_add_f16_sdwa v52, v54, v18 dst_sel:DWORD dst_unused:UNUSED_PAD src0_sel:DWORD src1_sel:WORD_1
	v_add_f16_e32 v41, v41, v18
	v_add_f16_sdwa v53, v53, v18 dst_sel:DWORD dst_unused:UNUSED_PAD src0_sel:DWORD src1_sel:WORD_1
	v_add_f16_e32 v44, v44, v18
	v_add_f16_sdwa v54, v56, v18 dst_sel:DWORD dst_unused:UNUSED_PAD src0_sel:DWORD src1_sel:WORD_1
	v_add_f16_e32 v43, v43, v18
	v_add_f16_sdwa v55, v55, v18 dst_sel:DWORD dst_unused:UNUSED_PAD src0_sel:DWORD src1_sel:WORD_1
	v_add_f16_e32 v46, v46, v18
	v_add_f16_sdwa v56, v58, v18 dst_sel:DWORD dst_unused:UNUSED_PAD src0_sel:DWORD src1_sel:WORD_1
	v_add_f16_e32 v45, v45, v18
	v_add_f16_sdwa v57, v57, v18 dst_sel:DWORD dst_unused:UNUSED_PAD src0_sel:DWORD src1_sel:WORD_1
	v_add_f16_e32 v47, v47, v18
	v_add_f16_sdwa v58, v59, v18 dst_sel:DWORD dst_unused:UNUSED_PAD src0_sel:DWORD src1_sel:WORD_1
	v_add_f16_e32 v30, v30, v18
	v_add_f16_sdwa v31, v31, v18 dst_sel:DWORD dst_unused:UNUSED_PAD src0_sel:DWORD src1_sel:WORD_1
	v_add_f16_e32 v18, v19, v26
	v_add_f16_e32 v19, v32, v27
	;; [unrolled: 1-line block ×20, first 2 shown]
	v_sub_f16_e32 v27, v27, v36
	v_add_f16_e32 v18, v18, v25
	v_add_f16_e32 v32, v26, v38
	v_mul_f16_e32 v36, 0xba95, v27
	v_add_f16_e32 v18, v18, v38
	v_sub_f16_e32 v26, v26, v38
	v_fma_f16 v38, v32, s5, -v36
	v_add_f16_e32 v34, v38, v34
	v_mul_f16_e32 v38, 0xba95, v26
	v_fma_f16 v36, v32, s5, v36
	v_add_f16_e32 v18, v18, v39
	v_fma_f16 v39, v37, s5, v38
	v_add_f16_e32 v33, v36, v33
	v_fma_f16 v36, v37, s5, -v38
	v_mul_f16_e32 v38, 0xbb7b, v27
	v_add_f16_e32 v39, v39, v48
	v_fma_f16 v48, v32, s1, -v38
	v_add_f16_e32 v40, v48, v40
	v_mul_f16_e32 v48, 0xbb7b, v26
	v_fma_f16 v38, v32, s1, v38
	v_add_f16_e32 v36, v36, v49
	v_fma_f16 v49, v37, s1, v48
	v_add_f16_e32 v35, v38, v35
	v_fma_f16 v38, v37, s1, -v48
	v_mul_f16_e32 v48, 0xb3a8, v27
	v_add_f16_e32 v49, v49, v50
	;; [unrolled: 10-line block ×4, first 2 shown]
	v_fma_f16 v54, v32, s0, -v52
	v_add_f16_e32 v46, v54, v46
	v_mul_f16_e32 v54, 0x3bf1, v26
	v_fma_f16 v52, v32, s0, v52
	v_mul_f16_e32 v27, 0x3770, v27
	v_add_f16_e32 v50, v50, v55
	v_fma_f16 v55, v37, s0, v54
	v_add_f16_e32 v45, v52, v45
	v_fma_f16 v52, v37, s0, -v54
	v_fma_f16 v54, v32, s6, -v27
	v_fma_f16 v27, v32, s6, v27
	v_mul_f16_e32 v26, 0x3770, v26
	v_add_f16_e32 v27, v27, v30
	v_add_f16_e32 v30, v28, v25
	v_sub_f16_e32 v25, v28, v25
	v_add_f16_e32 v28, v29, v24
	v_sub_f16_e32 v24, v29, v24
	v_add_f16_e32 v47, v54, v47
	v_fma_f16 v54, v37, s6, v26
	v_fma_f16 v26, v37, s6, -v26
	v_mul_f16_e32 v29, 0xbbf1, v24
	v_add_f16_e32 v26, v26, v31
	v_fma_f16 v31, v30, s0, -v29
	v_mul_f16_e32 v32, 0xbbf1, v25
	v_fma_f16 v29, v30, s0, v29
	v_add_f16_e32 v31, v31, v34
	v_fma_f16 v34, v28, s0, v32
	v_add_f16_e32 v29, v29, v33
	v_fma_f16 v32, v28, s0, -v32
	v_mul_f16_e32 v33, 0xb3a8, v24
	v_add_f16_e32 v32, v32, v36
	v_fma_f16 v36, v30, s4, -v33
	v_mul_f16_e32 v37, 0xb3a8, v25
	v_fma_f16 v33, v30, s4, v33
	v_add_f16_e32 v34, v34, v39
	v_fma_f16 v39, v28, s4, v37
	v_add_f16_e32 v33, v33, v35
	v_fma_f16 v35, v28, s4, -v37
	v_mul_f16_e32 v37, 0x3b7b, v24
	v_add_f16_e32 v36, v36, v40
	v_add_f16_e32 v35, v35, v38
	v_fma_f16 v38, v30, s1, -v37
	v_mul_f16_e32 v40, 0x3b7b, v25
	v_fma_f16 v37, v30, s1, v37
	v_add_f16_e32 v38, v38, v42
	v_fma_f16 v42, v28, s1, v40
	v_add_f16_e32 v37, v37, v41
	v_fma_f16 v40, v28, s1, -v40
	v_mul_f16_e32 v41, 0x3770, v24
	v_add_f16_e32 v40, v40, v48
	v_fma_f16 v48, v30, s6, -v41
	v_add_f16_e32 v44, v48, v44
	v_mul_f16_e32 v48, 0x3770, v25
	v_fma_f16 v41, v30, s6, v41
	v_add_f16_e32 v39, v39, v49
	v_fma_f16 v49, v28, s6, v48
	v_add_f16_e32 v41, v41, v43
	v_fma_f16 v43, v28, s6, -v48
	v_mul_f16_e32 v48, 0xba95, v24
	v_add_f16_e32 v43, v43, v50
	v_fma_f16 v50, v30, s5, -v48
	v_add_f16_e32 v46, v50, v46
	v_mul_f16_e32 v50, 0xba95, v25
	v_fma_f16 v48, v30, s5, v48
	v_mul_f16_e32 v24, 0xb94e, v24
	v_add_f16_e32 v42, v42, v51
	v_fma_f16 v51, v28, s5, v50
	v_add_f16_e32 v45, v48, v45
	v_fma_f16 v48, v28, s5, -v50
	v_fma_f16 v50, v30, s7, -v24
	v_mul_f16_e32 v25, 0xb94e, v25
	v_add_f16_e32 v47, v50, v47
	v_fma_f16 v50, v28, s7, v25
	v_fma_f16 v25, v28, s7, -v25
	v_add_f16_e32 v25, v25, v26
	v_add_f16_e32 v26, v23, v21
	v_sub_f16_e32 v21, v23, v21
	v_add_f16_e32 v23, v22, v20
	v_sub_f16_e32 v20, v22, v20
	v_fma_f16 v24, v30, s7, v24
	v_mul_f16_e32 v22, 0xbb7b, v20
	v_add_f16_e32 v24, v24, v27
	v_fma_f16 v27, v26, s1, -v22
	v_mul_f16_e32 v28, 0xbb7b, v21
	v_fma_f16 v22, v26, s1, v22
	v_fma_f16 v30, v23, s1, v28
	v_add_f16_e32 v22, v22, v29
	v_fma_f16 v28, v23, s1, -v28
	v_mul_f16_e32 v29, 0x394e, v20
	v_add_f16_e32 v27, v27, v31
	v_add_f16_e32 v28, v28, v32
	v_fma_f16 v31, v26, s7, -v29
	v_mul_f16_e32 v32, 0x394e, v21
	v_fma_f16 v29, v26, s7, v29
	v_add_f16_e32 v30, v30, v34
	v_fma_f16 v34, v23, s7, v32
	v_add_f16_e32 v29, v29, v33
	v_fma_f16 v32, v23, s7, -v32
	v_mul_f16_e32 v33, 0x3770, v20
	v_add_f16_e32 v31, v31, v36
	v_add_f16_e32 v32, v32, v35
	v_fma_f16 v35, v26, s6, -v33
	v_mul_f16_e32 v36, 0x3770, v21
	v_fma_f16 v33, v26, s6, v33
	v_add_f16_e32 v35, v35, v38
	;; [unrolled: 10-line block ×3, first 2 shown]
	v_fma_f16 v42, v23, s0, v40
	v_add_f16_e32 v37, v37, v41
	v_fma_f16 v40, v23, s0, -v40
	v_mul_f16_e32 v41, 0x33a8, v20
	v_add_f16_e32 v40, v40, v43
	v_fma_f16 v43, v26, s4, -v41
	v_fma_f16 v41, v26, s4, v41
	v_mul_f16_e32 v20, 0x3a95, v20
	v_add_f16_e32 v39, v39, v44
	v_mul_f16_e32 v44, 0x33a8, v21
	v_add_f16_e32 v41, v41, v45
	v_fma_f16 v45, v26, s5, -v20
	v_mul_f16_e32 v21, 0x3a95, v21
	v_add_f16_e32 v43, v43, v46
	v_fma_f16 v46, v23, s4, v44
	v_fma_f16 v44, v23, s4, -v44
	v_add_f16_e32 v45, v45, v47
	v_fma_f16 v47, v23, s5, v21
	v_fma_f16 v21, v23, s5, -v21
	v_add_f16_e32 v23, v17, v14
	v_sub_f16_e32 v14, v17, v14
	v_add_f16_e32 v17, v16, v15
	v_sub_f16_e32 v15, v16, v15
	v_fma_f16 v20, v26, s5, v20
	v_mul_f16_e32 v16, 0xb94e, v15
	v_add_f16_e32 v20, v20, v24
	v_add_f16_e32 v21, v21, v25
	v_fma_f16 v24, v23, s7, -v16
	v_mul_f16_e32 v25, 0xb94e, v14
	v_fma_f16 v16, v23, s7, v16
	v_fma_f16 v26, v17, s7, v25
	v_add_f16_e32 v16, v16, v22
	v_fma_f16 v22, v17, s7, -v25
	v_mul_f16_e32 v25, 0x3bf1, v15
	v_add_f16_e32 v24, v24, v27
	v_add_f16_e32 v22, v22, v28
	v_fma_f16 v27, v23, s0, -v25
	v_mul_f16_e32 v28, 0x3bf1, v14
	v_fma_f16 v25, v23, s0, v25
	v_add_f16_e32 v26, v26, v30
	v_fma_f16 v30, v17, s0, v28
	v_add_f16_e32 v25, v25, v29
	v_fma_f16 v28, v17, s0, -v28
	v_mul_f16_e32 v29, 0xba95, v15
	v_add_f16_e32 v27, v27, v31
	v_add_f16_e32 v28, v28, v32
	v_fma_f16 v31, v23, s5, -v29
	v_mul_f16_e32 v32, 0xba95, v14
	v_fma_f16 v29, v23, s5, v29
	v_add_f16_e32 v30, v30, v34
	;; [unrolled: 10-line block ×3, first 2 shown]
	v_add_f16_e32 v34, v34, v38
	v_fma_f16 v38, v17, s4, v36
	v_add_f16_e32 v33, v33, v37
	v_fma_f16 v36, v17, s4, -v36
	v_mul_f16_e32 v37, 0x3770, v15
	v_add_f16_e32 v42, v42, v49
	v_add_f16_e32 v35, v35, v39
	;; [unrolled: 1-line block ×3, first 2 shown]
	v_fma_f16 v39, v23, s6, -v37
	v_mul_f16_e32 v40, 0x3770, v14
	v_mul_f16_e32 v14, 0xbb7b, v14
	v_add_f16_e32 v38, v38, v42
	v_add_f16_e32 v39, v39, v43
	v_fma_f16 v42, v17, s6, v40
	v_fma_f16 v40, v17, s6, -v40
	v_fma_f16 v43, v17, s1, v14
	v_fma_f16 v14, v17, s1, -v14
	v_add_f16_e32 v17, v11, v12
	v_sub_f16_e32 v11, v11, v12
	v_fma_f16 v37, v23, s6, v37
	v_mul_f16_e32 v15, 0xbb7b, v15
	v_add_f16_e32 v14, v14, v21
	v_add_f16_e32 v12, v4, v13
	v_sub_f16_e32 v4, v4, v13
	v_mul_f16_e32 v21, 0xb3a8, v11
	v_add_f16_e32 v37, v37, v41
	v_fma_f16 v41, v23, s1, -v15
	v_fma_f16 v15, v23, s1, v15
	v_mul_f16_e32 v13, 0xb3a8, v4
	v_fma_f16 v23, v12, s4, v21
	v_fma_f16 v21, v12, s4, -v21
	v_add_f16_e32 v15, v15, v20
	v_fma_f16 v20, v17, s4, -v13
	v_add_f16_e32 v22, v21, v22
	v_mul_f16_e32 v21, 0x3770, v4
	v_add_f16_e32 v20, v20, v24
	v_add_f16_e32 v23, v23, v26
	v_fma_f16 v24, v17, s6, -v21
	v_mul_f16_e32 v26, 0x3770, v11
	v_fma_f16 v21, v17, s6, v21
	v_add_f16_e32 v24, v24, v27
	v_fma_f16 v27, v12, s6, v26
	v_add_f16_e32 v21, v21, v25
	v_fma_f16 v25, v12, s6, -v26
	v_mul_f16_e32 v26, 0xb94e, v4
	v_add_f16_e32 v27, v27, v30
	v_add_f16_e32 v25, v25, v28
	v_fma_f16 v28, v17, s7, -v26
	v_mul_f16_e32 v30, 0xb94e, v11
	v_fma_f16 v26, v17, s7, v26
	v_add_f16_e32 v28, v28, v31
	v_fma_f16 v31, v12, s7, v30
	v_add_f16_e32 v26, v26, v29
	v_fma_f16 v29, v12, s7, -v30
	v_mul_f16_e32 v30, 0x3a95, v4
	v_add_f16_e32 v52, v52, v57
	v_add_f16_e32 v31, v31, v34
	;; [unrolled: 1-line block ×3, first 2 shown]
	v_fma_f16 v32, v17, s5, -v30
	v_mul_f16_e32 v34, 0x3a95, v11
	v_fma_f16 v30, v17, s5, v30
	v_add_f16_e32 v48, v48, v52
	v_add_f16_e32 v32, v32, v35
	v_fma_f16 v35, v12, s5, v34
	v_add_f16_e32 v30, v30, v33
	v_fma_f16 v33, v12, s5, -v34
	v_mul_f16_e32 v34, 0xbb7b, v4
	v_add_f16_e32 v44, v44, v48
	v_add_f16_e32 v35, v35, v38
	;; [unrolled: 1-line block ×3, first 2 shown]
	v_fma_f16 v36, v17, s1, -v34
	v_mul_f16_e32 v38, 0xbb7b, v11
	v_fma_f16 v34, v17, s1, v34
	v_add_f16_e32 v55, v55, v56
	v_add_f16_e32 v40, v40, v44
	;; [unrolled: 1-line block ×3, first 2 shown]
	v_fma_f16 v37, v12, s1, -v38
	v_mul_f16_e32 v11, 0x3bf1, v11
	v_add_f16_e32 v54, v54, v58
	v_add_f16_e32 v51, v51, v55
	;; [unrolled: 1-line block ×3, first 2 shown]
	v_fma_f16 v39, v12, s1, v38
	v_add_f16_e32 v37, v37, v40
	v_fma_f16 v40, v12, s0, v11
	v_fma_f16 v11, v12, s0, -v11
	v_mov_b32_e32 v12, 2
	v_add_f16_e32 v50, v50, v54
	v_add_f16_e32 v46, v46, v51
	v_lshlrev_b32_sdwa v8, v12, v8 dst_sel:DWORD dst_unused:UNUSED_PAD src0_sel:DWORD src1_sel:BYTE_0
	v_add_f16_e32 v47, v47, v50
	v_add_f16_e32 v42, v42, v46
	v_mul_f16_e32 v4, 0x3bf1, v4
	v_add3_u32 v8, 0, v9, v8
	v_pack_b32_f16 v9, v18, v19
	v_pack_b32_f16 v12, v20, v23
	v_add_f16_e32 v41, v41, v45
	v_add_f16_e32 v43, v43, v47
	;; [unrolled: 1-line block ×3, first 2 shown]
	v_fma_f16 v38, v17, s0, -v4
	v_fma_f16 v4, v17, s0, v4
	s_waitcnt lgkmcnt(0)
	; wave barrier
	ds_write2_b32 v8, v9, v12 offset1:13
	v_pack_b32_f16 v9, v24, v27
	v_pack_b32_f16 v12, v28, v31
	v_add_f16_e32 v38, v38, v41
	v_add_f16_e32 v40, v40, v43
	;; [unrolled: 1-line block ×4, first 2 shown]
	ds_write2_b32 v8, v9, v12 offset0:26 offset1:39
	v_pack_b32_f16 v9, v32, v35
	v_pack_b32_f16 v12, v36, v39
	ds_write2_b32 v8, v9, v12 offset0:52 offset1:65
	v_pack_b32_f16 v9, v38, v40
	v_pack_b32_f16 v11, v15, v11
	v_fma_f16 v13, v17, s4, v13
	ds_write2_b32 v8, v9, v11 offset0:78 offset1:91
	v_pack_b32_f16 v9, v34, v37
	v_pack_b32_f16 v11, v30, v33
	v_add_f16_e32 v4, v13, v16
	ds_write2_b32 v8, v9, v11 offset0:104 offset1:117
	v_pack_b32_f16 v9, v26, v29
	v_pack_b32_f16 v11, v21, v25
	ds_write2_b32 v8, v9, v11 offset0:130 offset1:143
	v_pack_b32_f16 v9, v4, v22
	ds_write_b32 v8, v9 offset:624
	s_waitcnt lgkmcnt(0)
	; wave barrier
	s_waitcnt lgkmcnt(0)
	ds_read2_b32 v[8:9], v10 offset1:52
	ds_read2_b32 v[10:11], v10 offset0:104 offset1:169
	ds_read2_b32 v[14:15], v6 offset0:82 offset1:134
	;; [unrolled: 1-line block ×5, first 2 shown]
	v_cmp_gt_u32_e64 s[0:1], 13, v0
                                        ; implicit-def: $vgpr23
                                        ; implicit-def: $vgpr24
                                        ; implicit-def: $vgpr6
                                        ; implicit-def: $vgpr25
	s_and_saveexec_b64 s[4:5], s[0:1]
	s_cbranch_execz .LBB0_13
; %bb.12:
	v_mul_i32_i24_e32 v4, 0xffffffd0, v0
	v_add_u32_e32 v1, v1, v4
	v_add_u32_e32 v4, 0x200, v1
	;; [unrolled: 1-line block ×3, first 2 shown]
	ds_read2_b32 v[4:5], v4 offset0:28 offset1:197
	ds_read2_b32 v[6:7], v1 offset0:46 offset1:215
	s_waitcnt lgkmcnt(1)
	v_lshrrev_b32_e32 v22, 16, v4
	v_lshrrev_b32_e32 v23, 16, v5
	s_waitcnt lgkmcnt(0)
	v_lshrrev_b32_e32 v24, 16, v6
	v_lshrrev_b32_e32 v25, 16, v7
.LBB0_13:
	s_or_b64 exec, exec, s[4:5]
	s_and_saveexec_b64 s[4:5], vcc
	s_cbranch_execz .LBB0_16
; %bb.14:
	v_mul_u32_u24_e32 v1, 3, v0
	v_lshlrev_b32_e32 v1, 2, v1
	v_add_u32_e32 v35, 0x68, v0
	global_load_dwordx3 v[26:28], v1, s[8:9] offset:624
	v_mul_u32_u24_e32 v1, 3, v35
	v_lshlrev_b32_e32 v1, 2, v1
	global_load_dwordx3 v[29:31], v1, s[8:9] offset:624
	v_mov_b32_e32 v1, 0xffffff64
	v_mov_b32_e32 v21, 0
	v_mad_u32_u24 v20, v35, 3, v1
	v_lshlrev_b64 v[32:33], 2, v[20:21]
	v_mov_b32_e32 v34, s9
	v_add_co_u32_e32 v32, vcc, s8, v32
	v_addc_co_u32_e32 v33, vcc, v34, v33, vcc
	global_load_dwordx3 v[32:34], v[32:33], off offset:624
	s_waitcnt lgkmcnt(2)
	v_lshrrev_b32_e32 v37, 16, v12
	v_lshrrev_b32_e32 v38, 16, v15
	;; [unrolled: 1-line block ×6, first 2 shown]
	s_waitcnt vmcnt(2)
	v_mul_f16_sdwa v42, v27, v39 dst_sel:DWORD dst_unused:UNUSED_PAD src0_sel:WORD_1 src1_sel:DWORD
	v_lshrrev_b32_e32 v40, 16, v26
	v_fma_f16 v42, v27, v14, -v42
	s_waitcnt vmcnt(1)
	v_lshrrev_b32_e32 v45, 16, v29
	v_lshrrev_b32_e32 v46, 16, v31
	v_mul_f16_sdwa v47, v37, v30 dst_sel:DWORD dst_unused:UNUSED_PAD src0_sel:DWORD src1_sel:WORD_1
	s_waitcnt lgkmcnt(1)
	v_mul_f16_sdwa v48, v29, v17 dst_sel:DWORD dst_unused:UNUSED_PAD src0_sel:DWORD src1_sel:WORD_1
	s_waitcnt lgkmcnt(0)
	v_mul_f16_sdwa v49, v19, v31 dst_sel:DWORD dst_unused:UNUSED_PAD src0_sel:WORD_1 src1_sel:DWORD
	v_mul_f16_sdwa v50, v12, v30 dst_sel:DWORD dst_unused:UNUSED_PAD src0_sel:DWORD src1_sel:WORD_1
	v_fma_f16 v12, v12, v30, -v47
	v_fma_f16 v47, v45, v17, v48
	v_fma_f16 v48, v19, v46, v49
	;; [unrolled: 1-line block ×3, first 2 shown]
	v_mul_f16_sdwa v37, v45, v17 dst_sel:DWORD dst_unused:UNUSED_PAD src0_sel:DWORD src1_sel:WORD_1
	v_mul_f16_sdwa v45, v19, v46 dst_sel:DWORD dst_unused:UNUSED_PAD src0_sel:WORD_1 src1_sel:DWORD
	v_sub_f16_e32 v46, v47, v48
	v_fma_f16 v17, v29, v17, -v37
	v_fma_f16 v19, v19, v31, -v45
	s_waitcnt vmcnt(0)
	v_lshrrev_b32_e32 v29, 16, v32
	v_lshrrev_b32_e32 v31, 16, v34
	v_mul_f16_sdwa v37, v33, v38 dst_sel:DWORD dst_unused:UNUSED_PAD src0_sel:WORD_1 src1_sel:DWORD
	v_mul_f16_sdwa v45, v32, v16 dst_sel:DWORD dst_unused:UNUSED_PAD src0_sel:DWORD src1_sel:WORD_1
	v_mul_f16_sdwa v48, v34, v18 dst_sel:DWORD dst_unused:UNUSED_PAD src0_sel:DWORD src1_sel:WORD_1
	v_mul_f16_sdwa v49, v33, v15 dst_sel:DWORD dst_unused:UNUSED_PAD src0_sel:WORD_1 src1_sel:DWORD
	v_fma_f16 v15, v33, v15, -v37
	v_fma_f16 v37, v29, v16, v45
	v_fma_f16 v45, v31, v18, v48
	v_mul_f16_sdwa v29, v29, v16 dst_sel:DWORD dst_unused:UNUSED_PAD src0_sel:DWORD src1_sel:WORD_1
	v_mul_f16_sdwa v31, v31, v18 dst_sel:DWORD dst_unused:UNUSED_PAD src0_sel:DWORD src1_sel:WORD_1
	v_mul_f16_sdwa v14, v27, v14 dst_sel:DWORD dst_unused:UNUSED_PAD src0_sel:WORD_1 src1_sel:DWORD
	v_lshrrev_b32_e32 v41, 16, v28
	v_mul_f16_sdwa v43, v26, v11 dst_sel:DWORD dst_unused:UNUSED_PAD src0_sel:DWORD src1_sel:WORD_1
	v_fma_f16 v33, v33, v38, v49
	v_fma_f16 v16, v32, v16, -v29
	v_fma_f16 v18, v34, v18, -v31
	v_fma_f16 v14, v27, v39, v14
	v_mul_f16_sdwa v27, v40, v11 dst_sel:DWORD dst_unused:UNUSED_PAD src0_sel:DWORD src1_sel:WORD_1
	v_mul_f16_sdwa v44, v28, v13 dst_sel:DWORD dst_unused:UNUSED_PAD src0_sel:DWORD src1_sel:WORD_1
	v_fma_f16 v43, v40, v11, v43
	v_sub_f16_e32 v45, v37, v45
	v_sub_f16_e32 v33, v20, v33
	;; [unrolled: 1-line block ×3, first 2 shown]
	v_fma_f16 v11, v26, v11, -v27
	v_mul_f16_sdwa v26, v41, v13 dst_sel:DWORD dst_unused:UNUSED_PAD src0_sel:DWORD src1_sel:WORD_1
	v_fma_f16 v44, v41, v13, v44
	v_fma_f16 v20, v20, 2.0, -v33
	v_fma_f16 v32, v37, 2.0, -v45
	v_add_f16_e32 v34, v33, v18
	v_fma_f16 v13, v28, v13, -v26
	v_fma_f16 v16, v16, 2.0, -v18
	v_sub_f16_e32 v18, v20, v32
	v_fma_f16 v32, v33, 2.0, -v34
	v_sub_f16_e32 v33, v43, v44
	v_sub_f16_e32 v14, v1, v14
	v_sub_f16_e32 v13, v11, v13
	v_sub_f16_e32 v12, v10, v12
	v_sub_f16_e32 v30, v36, v30
	v_add_f16_e32 v26, v14, v13
	v_fma_f16 v11, v11, 2.0, -v13
	v_fma_f16 v1, v1, 2.0, -v14
	;; [unrolled: 1-line block ×3, first 2 shown]
	v_sub_f16_e32 v50, v12, v46
	v_sub_f16_e32 v19, v17, v19
	v_fma_f16 v36, v36, 2.0, -v30
	v_fma_f16 v46, v47, 2.0, -v46
	v_sub_f16_e32 v13, v1, v13
	v_sub_f16_e32 v42, v8, v42
	v_add_f16_e32 v38, v30, v19
	v_fma_f16 v17, v17, 2.0, -v19
	v_sub_f16_e32 v19, v36, v46
	v_fma_f16 v27, v14, 2.0, -v26
	v_fma_f16 v14, v1, 2.0, -v13
	v_mov_b32_e32 v1, v21
	v_fma_f16 v29, v30, 2.0, -v38
	v_fma_f16 v30, v36, 2.0, -v19
	v_sub_f16_e32 v36, v42, v33
	v_fma_f16 v8, v8, 2.0, -v42
	v_mov_b32_e32 v28, s3
	v_add_co_u32_e32 v33, vcc, s2, v2
	v_lshlrev_b64 v[1:2], 2, v[0:1]
	v_sub_f16_e32 v11, v8, v11
	v_addc_co_u32_e32 v3, vcc, v28, v3, vcc
	v_fma_f16 v8, v8, 2.0, -v11
	v_add_co_u32_e32 v1, vcc, v33, v1
	v_sub_f16_e32 v15, v9, v15
	v_fma_f16 v37, v42, 2.0, -v36
	v_addc_co_u32_e32 v2, vcc, v3, v2, vcc
	v_pack_b32_f16 v3, v8, v14
	v_fma_f16 v9, v9, 2.0, -v15
	global_store_dword v[1:2], v3, off
	v_pack_b32_f16 v3, v37, v27
	v_sub_f16_e32 v16, v9, v16
	global_store_dword v[1:2], v3, off offset:676
	v_pack_b32_f16 v3, v11, v13
	v_sub_f16_e32 v31, v15, v45
	v_fma_f16 v20, v20, 2.0, -v18
	v_fma_f16 v9, v9, 2.0, -v16
	global_store_dword v[1:2], v3, off offset:1352
	v_pack_b32_f16 v3, v36, v26
	s_mov_b32 s2, 0x60f25deb
	v_fma_f16 v15, v15, 2.0, -v31
	global_store_dword v[1:2], v3, off offset:2028
	v_pack_b32_f16 v3, v9, v20
	v_mul_hi_u32 v8, v35, s2
	global_store_dword v[1:2], v3, off offset:208
	v_pack_b32_f16 v3, v15, v32
	global_store_dword v[1:2], v3, off offset:884
	v_pack_b32_f16 v3, v16, v18
	;; [unrolled: 2-line block ×3, first 2 shown]
	global_store_dword v[1:2], v3, off offset:2236
	v_lshrrev_b32_e32 v3, 6, v8
	v_mul_u32_u24_e32 v20, 0x1fb, v3
	v_fma_f16 v10, v10, 2.0, -v12
	v_lshlrev_b64 v[8:9], 2, v[20:21]
	v_sub_f16_e32 v17, v10, v17
	v_fma_f16 v10, v10, 2.0, -v17
	v_add_co_u32_e32 v8, vcc, v1, v8
	v_fma_f16 v12, v12, 2.0, -v50
	v_addc_co_u32_e32 v9, vcc, v2, v9, vcc
	v_pack_b32_f16 v3, v10, v30
	global_store_dword v[8:9], v3, off offset:416
	v_pack_b32_f16 v3, v12, v29
	global_store_dword v[8:9], v3, off offset:1092
	;; [unrolled: 2-line block ×4, first 2 shown]
	s_and_b64 exec, exec, s[0:1]
	s_cbranch_execz .LBB0_16
; %bb.15:
	v_mov_b32_e32 v3, 0x9c
	v_cndmask_b32_e64 v3, -13, v3, s[0:1]
	v_add_u32_e32 v0, v0, v3
	v_mul_i32_i24_e32 v20, 3, v0
	v_lshlrev_b64 v[8:9], 2, v[20:21]
	v_mov_b32_e32 v0, s9
	v_add_co_u32_e32 v8, vcc, s8, v8
	v_addc_co_u32_e32 v9, vcc, v0, v9, vcc
	global_load_dwordx3 v[8:10], v[8:9], off offset:624
	s_waitcnt vmcnt(0)
	v_mul_f16_sdwa v0, v23, v8 dst_sel:DWORD dst_unused:UNUSED_PAD src0_sel:DWORD src1_sel:WORD_1
	v_mul_f16_sdwa v3, v5, v8 dst_sel:DWORD dst_unused:UNUSED_PAD src0_sel:DWORD src1_sel:WORD_1
	;; [unrolled: 1-line block ×6, first 2 shown]
	v_fma_f16 v0, v5, v8, -v0
	v_fma_f16 v3, v23, v8, v3
	v_fma_f16 v5, v6, v9, -v11
	v_fma_f16 v6, v24, v9, v12
	;; [unrolled: 2-line block ×3, first 2 shown]
	v_sub_f16_e32 v5, v4, v5
	v_sub_f16_e32 v6, v22, v6
	;; [unrolled: 1-line block ×4, first 2 shown]
	v_fma_f16 v4, v4, 2.0, -v5
	v_fma_f16 v9, v22, 2.0, -v6
	;; [unrolled: 1-line block ×4, first 2 shown]
	v_sub_f16_e32 v8, v5, v8
	v_add_f16_e32 v7, v6, v7
	v_sub_f16_e32 v0, v4, v0
	v_sub_f16_e32 v3, v9, v3
	v_fma_f16 v5, v5, 2.0, -v8
	v_fma_f16 v6, v6, 2.0, -v7
	v_pack_b32_f16 v7, v8, v7
	v_fma_f16 v4, v4, 2.0, -v0
	v_fma_f16 v8, v9, 2.0, -v3
	v_pack_b32_f16 v5, v5, v6
	v_pack_b32_f16 v0, v0, v3
	;; [unrolled: 1-line block ×3, first 2 shown]
	global_store_dword v[1:2], v5, off offset:1300
	global_store_dword v[1:2], v0, off offset:1976
	;; [unrolled: 1-line block ×4, first 2 shown]
.LBB0_16:
	s_endpgm
	.section	.rodata,"a",@progbits
	.p2align	6, 0x0
	.amdhsa_kernel fft_rtc_fwd_len676_factors_13_13_4_wgs_52_tpt_52_half_ip_CI_unitstride_sbrr_dirReg
		.amdhsa_group_segment_fixed_size 0
		.amdhsa_private_segment_fixed_size 0
		.amdhsa_kernarg_size 88
		.amdhsa_user_sgpr_count 6
		.amdhsa_user_sgpr_private_segment_buffer 1
		.amdhsa_user_sgpr_dispatch_ptr 0
		.amdhsa_user_sgpr_queue_ptr 0
		.amdhsa_user_sgpr_kernarg_segment_ptr 1
		.amdhsa_user_sgpr_dispatch_id 0
		.amdhsa_user_sgpr_flat_scratch_init 0
		.amdhsa_user_sgpr_private_segment_size 0
		.amdhsa_uses_dynamic_stack 0
		.amdhsa_system_sgpr_private_segment_wavefront_offset 0
		.amdhsa_system_sgpr_workgroup_id_x 1
		.amdhsa_system_sgpr_workgroup_id_y 0
		.amdhsa_system_sgpr_workgroup_id_z 0
		.amdhsa_system_sgpr_workgroup_info 0
		.amdhsa_system_vgpr_workitem_id 0
		.amdhsa_next_free_vgpr 60
		.amdhsa_next_free_sgpr 22
		.amdhsa_reserve_vcc 1
		.amdhsa_reserve_flat_scratch 0
		.amdhsa_float_round_mode_32 0
		.amdhsa_float_round_mode_16_64 0
		.amdhsa_float_denorm_mode_32 3
		.amdhsa_float_denorm_mode_16_64 3
		.amdhsa_dx10_clamp 1
		.amdhsa_ieee_mode 1
		.amdhsa_fp16_overflow 0
		.amdhsa_exception_fp_ieee_invalid_op 0
		.amdhsa_exception_fp_denorm_src 0
		.amdhsa_exception_fp_ieee_div_zero 0
		.amdhsa_exception_fp_ieee_overflow 0
		.amdhsa_exception_fp_ieee_underflow 0
		.amdhsa_exception_fp_ieee_inexact 0
		.amdhsa_exception_int_div_zero 0
	.end_amdhsa_kernel
	.text
.Lfunc_end0:
	.size	fft_rtc_fwd_len676_factors_13_13_4_wgs_52_tpt_52_half_ip_CI_unitstride_sbrr_dirReg, .Lfunc_end0-fft_rtc_fwd_len676_factors_13_13_4_wgs_52_tpt_52_half_ip_CI_unitstride_sbrr_dirReg
                                        ; -- End function
	.section	.AMDGPU.csdata,"",@progbits
; Kernel info:
; codeLenInByte = 9048
; NumSgprs: 26
; NumVgprs: 60
; ScratchSize: 0
; MemoryBound: 0
; FloatMode: 240
; IeeeMode: 1
; LDSByteSize: 0 bytes/workgroup (compile time only)
; SGPRBlocks: 3
; VGPRBlocks: 14
; NumSGPRsForWavesPerEU: 26
; NumVGPRsForWavesPerEU: 60
; Occupancy: 4
; WaveLimiterHint : 1
; COMPUTE_PGM_RSRC2:SCRATCH_EN: 0
; COMPUTE_PGM_RSRC2:USER_SGPR: 6
; COMPUTE_PGM_RSRC2:TRAP_HANDLER: 0
; COMPUTE_PGM_RSRC2:TGID_X_EN: 1
; COMPUTE_PGM_RSRC2:TGID_Y_EN: 0
; COMPUTE_PGM_RSRC2:TGID_Z_EN: 0
; COMPUTE_PGM_RSRC2:TIDIG_COMP_CNT: 0
	.type	__hip_cuid_1c16bdf50ba38dc5,@object ; @__hip_cuid_1c16bdf50ba38dc5
	.section	.bss,"aw",@nobits
	.globl	__hip_cuid_1c16bdf50ba38dc5
__hip_cuid_1c16bdf50ba38dc5:
	.byte	0                               ; 0x0
	.size	__hip_cuid_1c16bdf50ba38dc5, 1

	.ident	"AMD clang version 19.0.0git (https://github.com/RadeonOpenCompute/llvm-project roc-6.4.0 25133 c7fe45cf4b819c5991fe208aaa96edf142730f1d)"
	.section	".note.GNU-stack","",@progbits
	.addrsig
	.addrsig_sym __hip_cuid_1c16bdf50ba38dc5
	.amdgpu_metadata
---
amdhsa.kernels:
  - .args:
      - .actual_access:  read_only
        .address_space:  global
        .offset:         0
        .size:           8
        .value_kind:     global_buffer
      - .offset:         8
        .size:           8
        .value_kind:     by_value
      - .actual_access:  read_only
        .address_space:  global
        .offset:         16
        .size:           8
        .value_kind:     global_buffer
      - .actual_access:  read_only
        .address_space:  global
        .offset:         24
        .size:           8
        .value_kind:     global_buffer
      - .offset:         32
        .size:           8
        .value_kind:     by_value
      - .actual_access:  read_only
        .address_space:  global
        .offset:         40
        .size:           8
        .value_kind:     global_buffer
      - .actual_access:  read_only
        .address_space:  global
        .offset:         48
        .size:           8
        .value_kind:     global_buffer
      - .offset:         56
        .size:           4
        .value_kind:     by_value
      - .actual_access:  read_only
        .address_space:  global
        .offset:         64
        .size:           8
        .value_kind:     global_buffer
      - .actual_access:  read_only
        .address_space:  global
        .offset:         72
        .size:           8
        .value_kind:     global_buffer
      - .address_space:  global
        .offset:         80
        .size:           8
        .value_kind:     global_buffer
    .group_segment_fixed_size: 0
    .kernarg_segment_align: 8
    .kernarg_segment_size: 88
    .language:       OpenCL C
    .language_version:
      - 2
      - 0
    .max_flat_workgroup_size: 52
    .name:           fft_rtc_fwd_len676_factors_13_13_4_wgs_52_tpt_52_half_ip_CI_unitstride_sbrr_dirReg
    .private_segment_fixed_size: 0
    .sgpr_count:     26
    .sgpr_spill_count: 0
    .symbol:         fft_rtc_fwd_len676_factors_13_13_4_wgs_52_tpt_52_half_ip_CI_unitstride_sbrr_dirReg.kd
    .uniform_work_group_size: 1
    .uses_dynamic_stack: false
    .vgpr_count:     60
    .vgpr_spill_count: 0
    .wavefront_size: 64
amdhsa.target:   amdgcn-amd-amdhsa--gfx906
amdhsa.version:
  - 1
  - 2
...

	.end_amdgpu_metadata
